;; amdgpu-corpus repo=ROCm/rocFFT kind=compiled arch=gfx906 opt=O3
	.text
	.amdgcn_target "amdgcn-amd-amdhsa--gfx906"
	.amdhsa_code_object_version 6
	.protected	fft_rtc_back_len660_factors_11_6_10_wgs_110_tpt_110_halfLds_half_ip_CI_unitstride_sbrr_C2R_dirReg ; -- Begin function fft_rtc_back_len660_factors_11_6_10_wgs_110_tpt_110_halfLds_half_ip_CI_unitstride_sbrr_C2R_dirReg
	.globl	fft_rtc_back_len660_factors_11_6_10_wgs_110_tpt_110_halfLds_half_ip_CI_unitstride_sbrr_C2R_dirReg
	.p2align	8
	.type	fft_rtc_back_len660_factors_11_6_10_wgs_110_tpt_110_halfLds_half_ip_CI_unitstride_sbrr_C2R_dirReg,@function
fft_rtc_back_len660_factors_11_6_10_wgs_110_tpt_110_halfLds_half_ip_CI_unitstride_sbrr_C2R_dirReg: ; @fft_rtc_back_len660_factors_11_6_10_wgs_110_tpt_110_halfLds_half_ip_CI_unitstride_sbrr_C2R_dirReg
; %bb.0:
	s_load_dwordx2 s[2:3], s[4:5], 0x50
	s_load_dwordx4 s[8:11], s[4:5], 0x0
	s_load_dwordx2 s[12:13], s[4:5], 0x18
	v_mul_u32_u24_e32 v1, 0x254, v0
	v_add_u32_sdwa v5, s6, v1 dst_sel:DWORD dst_unused:UNUSED_PAD src0_sel:DWORD src1_sel:WORD_1
	v_mov_b32_e32 v3, 0
	s_waitcnt lgkmcnt(0)
	v_cmp_lt_u64_e64 s[0:1], s[10:11], 2
	v_mov_b32_e32 v1, 0
	v_mov_b32_e32 v6, v3
	s_and_b64 vcc, exec, s[0:1]
	v_mov_b32_e32 v2, 0
	s_cbranch_vccnz .LBB0_8
; %bb.1:
	s_load_dwordx2 s[0:1], s[4:5], 0x10
	s_add_u32 s6, s12, 8
	s_addc_u32 s7, s13, 0
	v_mov_b32_e32 v1, 0
	v_mov_b32_e32 v2, 0
	s_waitcnt lgkmcnt(0)
	s_add_u32 s14, s0, 8
	s_addc_u32 s15, s1, 0
	s_mov_b64 s[16:17], 1
.LBB0_2:                                ; =>This Inner Loop Header: Depth=1
	s_load_dwordx2 s[18:19], s[14:15], 0x0
                                        ; implicit-def: $vgpr7_vgpr8
	s_waitcnt lgkmcnt(0)
	v_or_b32_e32 v4, s19, v6
	v_cmp_ne_u64_e32 vcc, 0, v[3:4]
	s_and_saveexec_b64 s[0:1], vcc
	s_xor_b64 s[20:21], exec, s[0:1]
	s_cbranch_execz .LBB0_4
; %bb.3:                                ;   in Loop: Header=BB0_2 Depth=1
	v_cvt_f32_u32_e32 v4, s18
	v_cvt_f32_u32_e32 v7, s19
	s_sub_u32 s0, 0, s18
	s_subb_u32 s1, 0, s19
	v_mac_f32_e32 v4, 0x4f800000, v7
	v_rcp_f32_e32 v4, v4
	v_mul_f32_e32 v4, 0x5f7ffffc, v4
	v_mul_f32_e32 v7, 0x2f800000, v4
	v_trunc_f32_e32 v7, v7
	v_mac_f32_e32 v4, 0xcf800000, v7
	v_cvt_u32_f32_e32 v7, v7
	v_cvt_u32_f32_e32 v4, v4
	v_mul_lo_u32 v8, s0, v7
	v_mul_hi_u32 v9, s0, v4
	v_mul_lo_u32 v11, s1, v4
	v_mul_lo_u32 v10, s0, v4
	v_add_u32_e32 v8, v9, v8
	v_add_u32_e32 v8, v8, v11
	v_mul_hi_u32 v9, v4, v10
	v_mul_lo_u32 v11, v4, v8
	v_mul_hi_u32 v13, v4, v8
	v_mul_hi_u32 v12, v7, v10
	v_mul_lo_u32 v10, v7, v10
	v_mul_hi_u32 v14, v7, v8
	v_add_co_u32_e32 v9, vcc, v9, v11
	v_addc_co_u32_e32 v11, vcc, 0, v13, vcc
	v_mul_lo_u32 v8, v7, v8
	v_add_co_u32_e32 v9, vcc, v9, v10
	v_addc_co_u32_e32 v9, vcc, v11, v12, vcc
	v_addc_co_u32_e32 v10, vcc, 0, v14, vcc
	v_add_co_u32_e32 v8, vcc, v9, v8
	v_addc_co_u32_e32 v9, vcc, 0, v10, vcc
	v_add_co_u32_e32 v4, vcc, v4, v8
	v_addc_co_u32_e32 v7, vcc, v7, v9, vcc
	v_mul_lo_u32 v8, s0, v7
	v_mul_hi_u32 v9, s0, v4
	v_mul_lo_u32 v10, s1, v4
	v_mul_lo_u32 v11, s0, v4
	v_add_u32_e32 v8, v9, v8
	v_add_u32_e32 v8, v8, v10
	v_mul_lo_u32 v12, v4, v8
	v_mul_hi_u32 v13, v4, v11
	v_mul_hi_u32 v14, v4, v8
	;; [unrolled: 1-line block ×3, first 2 shown]
	v_mul_lo_u32 v11, v7, v11
	v_mul_hi_u32 v9, v7, v8
	v_add_co_u32_e32 v12, vcc, v13, v12
	v_addc_co_u32_e32 v13, vcc, 0, v14, vcc
	v_mul_lo_u32 v8, v7, v8
	v_add_co_u32_e32 v11, vcc, v12, v11
	v_addc_co_u32_e32 v10, vcc, v13, v10, vcc
	v_addc_co_u32_e32 v9, vcc, 0, v9, vcc
	v_add_co_u32_e32 v8, vcc, v10, v8
	v_addc_co_u32_e32 v9, vcc, 0, v9, vcc
	v_add_co_u32_e32 v4, vcc, v4, v8
	v_addc_co_u32_e32 v9, vcc, v7, v9, vcc
	v_mad_u64_u32 v[7:8], s[0:1], v5, v9, 0
	v_mul_hi_u32 v10, v5, v4
	v_add_co_u32_e32 v11, vcc, v10, v7
	v_addc_co_u32_e32 v12, vcc, 0, v8, vcc
	v_mad_u64_u32 v[7:8], s[0:1], v6, v4, 0
	v_mad_u64_u32 v[9:10], s[0:1], v6, v9, 0
	v_add_co_u32_e32 v4, vcc, v11, v7
	v_addc_co_u32_e32 v4, vcc, v12, v8, vcc
	v_addc_co_u32_e32 v7, vcc, 0, v10, vcc
	v_add_co_u32_e32 v4, vcc, v4, v9
	v_addc_co_u32_e32 v9, vcc, 0, v7, vcc
	v_mul_lo_u32 v10, s19, v4
	v_mul_lo_u32 v11, s18, v9
	v_mad_u64_u32 v[7:8], s[0:1], s18, v4, 0
	v_add3_u32 v8, v8, v11, v10
	v_sub_u32_e32 v10, v6, v8
	v_mov_b32_e32 v11, s19
	v_sub_co_u32_e32 v7, vcc, v5, v7
	v_subb_co_u32_e64 v10, s[0:1], v10, v11, vcc
	v_subrev_co_u32_e64 v11, s[0:1], s18, v7
	v_subbrev_co_u32_e64 v10, s[0:1], 0, v10, s[0:1]
	v_cmp_le_u32_e64 s[0:1], s19, v10
	v_cndmask_b32_e64 v12, 0, -1, s[0:1]
	v_cmp_le_u32_e64 s[0:1], s18, v11
	v_cndmask_b32_e64 v11, 0, -1, s[0:1]
	v_cmp_eq_u32_e64 s[0:1], s19, v10
	v_cndmask_b32_e64 v10, v12, v11, s[0:1]
	v_add_co_u32_e64 v11, s[0:1], 2, v4
	v_addc_co_u32_e64 v12, s[0:1], 0, v9, s[0:1]
	v_add_co_u32_e64 v13, s[0:1], 1, v4
	v_addc_co_u32_e64 v14, s[0:1], 0, v9, s[0:1]
	v_subb_co_u32_e32 v8, vcc, v6, v8, vcc
	v_cmp_ne_u32_e64 s[0:1], 0, v10
	v_cmp_le_u32_e32 vcc, s19, v8
	v_cndmask_b32_e64 v10, v14, v12, s[0:1]
	v_cndmask_b32_e64 v12, 0, -1, vcc
	v_cmp_le_u32_e32 vcc, s18, v7
	v_cndmask_b32_e64 v7, 0, -1, vcc
	v_cmp_eq_u32_e32 vcc, s19, v8
	v_cndmask_b32_e32 v7, v12, v7, vcc
	v_cmp_ne_u32_e32 vcc, 0, v7
	v_cndmask_b32_e64 v7, v13, v11, s[0:1]
	v_cndmask_b32_e32 v8, v9, v10, vcc
	v_cndmask_b32_e32 v7, v4, v7, vcc
.LBB0_4:                                ;   in Loop: Header=BB0_2 Depth=1
	s_andn2_saveexec_b64 s[0:1], s[20:21]
	s_cbranch_execz .LBB0_6
; %bb.5:                                ;   in Loop: Header=BB0_2 Depth=1
	v_cvt_f32_u32_e32 v4, s18
	s_sub_i32 s20, 0, s18
	v_rcp_iflag_f32_e32 v4, v4
	v_mul_f32_e32 v4, 0x4f7ffffe, v4
	v_cvt_u32_f32_e32 v4, v4
	v_mul_lo_u32 v7, s20, v4
	v_mul_hi_u32 v7, v4, v7
	v_add_u32_e32 v4, v4, v7
	v_mul_hi_u32 v4, v5, v4
	v_mul_lo_u32 v7, v4, s18
	v_add_u32_e32 v8, 1, v4
	v_sub_u32_e32 v7, v5, v7
	v_subrev_u32_e32 v9, s18, v7
	v_cmp_le_u32_e32 vcc, s18, v7
	v_cndmask_b32_e32 v7, v7, v9, vcc
	v_cndmask_b32_e32 v4, v4, v8, vcc
	v_add_u32_e32 v8, 1, v4
	v_cmp_le_u32_e32 vcc, s18, v7
	v_cndmask_b32_e32 v7, v4, v8, vcc
	v_mov_b32_e32 v8, v3
.LBB0_6:                                ;   in Loop: Header=BB0_2 Depth=1
	s_or_b64 exec, exec, s[0:1]
	v_mul_lo_u32 v4, v8, s18
	v_mul_lo_u32 v11, v7, s19
	v_mad_u64_u32 v[9:10], s[0:1], v7, s18, 0
	s_load_dwordx2 s[0:1], s[6:7], 0x0
	s_add_u32 s16, s16, 1
	v_add3_u32 v4, v10, v11, v4
	v_sub_co_u32_e32 v5, vcc, v5, v9
	v_subb_co_u32_e32 v4, vcc, v6, v4, vcc
	s_waitcnt lgkmcnt(0)
	v_mul_lo_u32 v4, s0, v4
	v_mul_lo_u32 v6, s1, v5
	v_mad_u64_u32 v[1:2], s[0:1], s0, v5, v[1:2]
	s_addc_u32 s17, s17, 0
	s_add_u32 s6, s6, 8
	v_add3_u32 v2, v6, v2, v4
	v_mov_b32_e32 v4, s10
	v_mov_b32_e32 v5, s11
	s_addc_u32 s7, s7, 0
	v_cmp_ge_u64_e32 vcc, s[16:17], v[4:5]
	s_add_u32 s14, s14, 8
	s_addc_u32 s15, s15, 0
	s_cbranch_vccnz .LBB0_9
; %bb.7:                                ;   in Loop: Header=BB0_2 Depth=1
	v_mov_b32_e32 v5, v7
	v_mov_b32_e32 v6, v8
	s_branch .LBB0_2
.LBB0_8:
	v_mov_b32_e32 v8, v6
	v_mov_b32_e32 v7, v5
.LBB0_9:
	s_lshl_b64 s[0:1], s[10:11], 3
	s_add_u32 s0, s12, s0
	s_addc_u32 s1, s13, s1
	s_load_dwordx2 s[6:7], s[0:1], 0x0
	s_load_dwordx2 s[10:11], s[4:5], 0x20
	s_waitcnt lgkmcnt(0)
	v_mad_u64_u32 v[1:2], s[0:1], s6, v7, v[1:2]
	v_mul_lo_u32 v3, s6, v8
	v_mul_lo_u32 v4, s7, v7
	s_mov_b32 s0, 0x253c826
	v_mul_hi_u32 v5, v0, s0
	v_cmp_gt_u64_e32 vcc, s[10:11], v[7:8]
	v_add3_u32 v2, v4, v2, v3
	v_lshlrev_b64 v[2:3], 2, v[1:2]
	v_mul_u32_u24_e32 v4, 0x6e, v5
	v_sub_u32_e32 v0, v0, v4
	s_and_saveexec_b64 s[4:5], vcc
	s_cbranch_execz .LBB0_13
; %bb.10:
	v_mov_b32_e32 v1, 0
	v_mov_b32_e32 v5, s3
	v_add_co_u32_e64 v4, s[0:1], s2, v2
	v_lshlrev_b64 v[6:7], 2, v[0:1]
	v_addc_co_u32_e64 v5, s[0:1], v5, v3, s[0:1]
	v_add_co_u32_e64 v6, s[0:1], v4, v6
	v_addc_co_u32_e64 v7, s[0:1], v5, v7, s[0:1]
	global_load_dword v8, v[6:7], off
	global_load_dword v9, v[6:7], off offset:440
	global_load_dword v10, v[6:7], off offset:880
	global_load_dword v11, v[6:7], off offset:1320
	global_load_dword v12, v[6:7], off offset:1760
	global_load_dword v13, v[6:7], off offset:2200
	s_movk_i32 s0, 0x6d
	v_lshl_add_u32 v6, v0, 2, 0
	v_cmp_eq_u32_e64 s[0:1], s0, v0
	v_add_u32_e32 v7, 0x200, v6
	v_add_u32_e32 v14, 0x600, v6
	s_waitcnt vmcnt(4)
	ds_write2_b32 v6, v8, v9 offset1:110
	s_waitcnt vmcnt(2)
	ds_write2_b32 v7, v10, v11 offset0:92 offset1:202
	s_waitcnt vmcnt(0)
	ds_write2_b32 v14, v12, v13 offset0:56 offset1:166
	s_and_saveexec_b64 s[6:7], s[0:1]
	s_cbranch_execz .LBB0_12
; %bb.11:
	global_load_dword v0, v[4:5], off offset:2640
	s_waitcnt vmcnt(0)
	ds_write_b32 v1, v0 offset:2640
	v_mov_b32_e32 v0, 0x6d
.LBB0_12:
	s_or_b64 exec, exec, s[6:7]
.LBB0_13:
	s_or_b64 exec, exec, s[4:5]
	v_lshlrev_b32_e32 v1, 2, v0
	v_add_u32_e32 v18, 0, v1
	s_waitcnt lgkmcnt(0)
	s_barrier
	v_sub_u32_e32 v6, 0, v1
	ds_read_u16 v9, v18
	ds_read_u16 v10, v6 offset:2640
	v_cmp_ne_u32_e64 s[0:1], 0, v0
                                        ; implicit-def: $vgpr4_vgpr5
	s_waitcnt lgkmcnt(0)
	v_add_f16_e32 v7, v10, v9
	v_sub_f16_e32 v8, v9, v10
	s_and_saveexec_b64 s[4:5], s[0:1]
	s_xor_b64 s[4:5], exec, s[4:5]
	s_cbranch_execz .LBB0_15
; %bb.14:
	v_mov_b32_e32 v1, 0
	v_lshlrev_b64 v[4:5], 2, v[0:1]
	v_mov_b32_e32 v7, s9
	v_add_co_u32_e64 v4, s[0:1], s8, v4
	v_addc_co_u32_e64 v5, s[0:1], v7, v5, s[0:1]
	global_load_dword v4, v[4:5], off offset:2596
	ds_read_u16 v5, v6 offset:2642
	ds_read_u16 v7, v18 offset:2
	v_add_f16_e32 v8, v10, v9
	v_sub_f16_e32 v9, v9, v10
	s_waitcnt lgkmcnt(0)
	v_add_f16_e32 v10, v5, v7
	v_sub_f16_e32 v5, v7, v5
	s_waitcnt vmcnt(0)
	v_lshrrev_b32_e32 v7, 16, v4
	v_fma_f16 v11, v9, v7, v8
	v_fma_f16 v12, v10, v7, v5
	v_fma_f16 v13, -v9, v7, v8
	v_fma_f16 v5, v10, v7, -v5
	v_fma_f16 v7, -v4, v10, v11
	v_fma_f16 v8, v9, v4, v12
	v_fma_f16 v10, v4, v10, v13
	;; [unrolled: 1-line block ×3, first 2 shown]
	v_pack_b32_f16 v4, v10, v4
	ds_write_b32 v6, v4 offset:2640
	v_mov_b32_e32 v5, v1
	v_mov_b32_e32 v4, v0
.LBB0_15:
	s_andn2_saveexec_b64 s[0:1], s[4:5]
	s_cbranch_execz .LBB0_17
; %bb.16:
	v_mov_b32_e32 v1, 0
	ds_read_b32 v4, v1 offset:1320
	s_mov_b32 s4, 0xc0004000
	s_waitcnt lgkmcnt(0)
	v_pk_mul_f16 v9, v4, s4
	v_mov_b32_e32 v4, 0
	v_mov_b32_e32 v5, 0
	ds_write_b32 v1, v9 offset:1320
.LBB0_17:
	s_or_b64 exec, exec, s[0:1]
	s_add_u32 s0, s8, 0xa24
	v_lshlrev_b64 v[4:5], 2, v[4:5]
	s_addc_u32 s1, s9, 0
	v_mov_b32_e32 v1, s1
	v_add_co_u32_e64 v4, s[0:1], s0, v4
	v_addc_co_u32_e64 v5, s[0:1], v1, v5, s[0:1]
	global_load_dword v9, v[4:5], off offset:440
	global_load_dword v10, v[4:5], off offset:880
	s_mov_b32 s6, 0x5040100
	v_perm_b32 v5, v8, v7, s6
	ds_write_b32 v18, v5
	ds_read_b32 v5, v18 offset:440
	ds_read_b32 v7, v6 offset:2200
	v_add_u32_e32 v1, 0x200, v18
	v_add_u32_e32 v4, 0x400, v18
	;; [unrolled: 1-line block ×3, first 2 shown]
	s_mov_b32 s12, 0xbb47
	s_waitcnt lgkmcnt(0)
	v_add_f16_e32 v8, v5, v7
	v_add_f16_sdwa v11, v7, v5 dst_sel:DWORD dst_unused:UNUSED_PAD src0_sel:WORD_1 src1_sel:WORD_1
	v_sub_f16_e32 v12, v5, v7
	v_sub_f16_sdwa v5, v5, v7 dst_sel:DWORD dst_unused:UNUSED_PAD src0_sel:WORD_1 src1_sel:WORD_1
	s_mov_b32 s13, 0xbbeb
	s_movk_i32 s7, 0x36a6
	s_mov_b32 s10, 0xb08e
	s_mov_b32 s15, 0xba0c
	s_movk_i32 s0, 0x3482
	s_mov_b32 s11, 0xb93d
	s_mov_b32 s14, 0xbbad
	s_movk_i32 s4, 0x3b47
	s_movk_i32 s1, 0x3beb
	s_mov_b32 s17, 0xb853
	s_movk_i32 s16, 0x3abb
	s_movk_i32 s5, 0x3853
	s_mov_b32 s18, 0xb482
	s_waitcnt vmcnt(1)
	v_lshrrev_b32_e32 v7, 16, v9
	v_fma_f16 v13, v12, v7, v8
	v_fma_f16 v14, v11, v7, v5
	v_fma_f16 v8, -v12, v7, v8
	v_fma_f16 v5, v11, v7, -v5
	v_fma_f16 v7, -v9, v11, v13
	v_fma_f16 v13, v12, v9, v14
	v_fma_f16 v8, v9, v11, v8
	;; [unrolled: 1-line block ×3, first 2 shown]
	v_pack_b32_f16 v7, v7, v13
	v_pack_b32_f16 v5, v8, v5
	ds_write_b32 v18, v7 offset:440
	ds_write_b32 v6, v5 offset:2200
	ds_read_b32 v5, v18 offset:880
	ds_read_b32 v7, v6 offset:1760
	s_waitcnt vmcnt(0)
	v_lshrrev_b32_e32 v8, 16, v10
	s_waitcnt lgkmcnt(0)
	v_add_f16_e32 v9, v5, v7
	v_add_f16_sdwa v11, v7, v5 dst_sel:DWORD dst_unused:UNUSED_PAD src0_sel:WORD_1 src1_sel:WORD_1
	v_sub_f16_e32 v12, v5, v7
	v_sub_f16_sdwa v5, v5, v7 dst_sel:DWORD dst_unused:UNUSED_PAD src0_sel:WORD_1 src1_sel:WORD_1
	v_fma_f16 v7, v12, v8, v9
	v_fma_f16 v13, v11, v8, v5
	v_fma_f16 v9, -v12, v8, v9
	v_fma_f16 v5, v11, v8, -v5
	v_fma_f16 v7, -v10, v11, v7
	v_fma_f16 v8, v12, v10, v13
	v_fma_f16 v9, v10, v11, v9
	;; [unrolled: 1-line block ×3, first 2 shown]
	v_pack_b32_f16 v7, v7, v8
	v_pack_b32_f16 v5, v9, v5
	ds_write_b32 v18, v7 offset:880
	ds_write_b32 v6, v5 offset:1760
	s_waitcnt lgkmcnt(0)
	s_barrier
	s_barrier
	ds_read2_b32 v[8:9], v18 offset1:60
	ds_read_b32 v26, v18 offset:2400
	ds_read2_b32 v[14:15], v18 offset0:120 offset1:180
	ds_read2_b32 v[10:11], v19 offset0:96 offset1:156
	ds_read2_b32 v[12:13], v4 offset0:104 offset1:164
	ds_read2_b32 v[16:17], v1 offset0:112 offset1:172
	s_waitcnt lgkmcnt(4)
	v_pk_add_f16 v29, v9, v26 neg_lo:[0,1] neg_hi:[0,1]
	v_pk_add_f16 v28, v26, v9
	s_waitcnt lgkmcnt(2)
	v_pk_add_f16 v30, v14, v11 neg_lo:[0,1] neg_hi:[0,1]
	v_mul_f16_sdwa v34, v29, s12 dst_sel:DWORD dst_unused:UNUSED_PAD src0_sel:WORD_1 src1_sel:DWORD
	v_mul_f16_sdwa v38, v29, s13 dst_sel:DWORD dst_unused:UNUSED_PAD src0_sel:WORD_1 src1_sel:DWORD
	v_pk_add_f16 v27, v11, v14
	v_pk_add_f16 v31, v15, v10 neg_lo:[0,1] neg_hi:[0,1]
	v_mul_f16_sdwa v35, v30, s15 dst_sel:DWORD dst_unused:UNUSED_PAD src0_sel:WORD_1 src1_sel:DWORD
	v_mul_f16_sdwa v39, v30, s0 dst_sel:DWORD dst_unused:UNUSED_PAD src0_sel:WORD_1 src1_sel:DWORD
	v_fma_f16 v4, v28, s7, -v34
	v_fma_f16 v5, v28, s10, -v38
	v_pk_add_f16 v25, v10, v15
	s_waitcnt lgkmcnt(0)
	v_pk_add_f16 v32, v16, v13 neg_lo:[0,1] neg_hi:[0,1]
	v_mul_f16_sdwa v36, v31, s0 dst_sel:DWORD dst_unused:UNUSED_PAD src0_sel:WORD_1 src1_sel:DWORD
	v_mul_f16_sdwa v40, v31, s4 dst_sel:DWORD dst_unused:UNUSED_PAD src0_sel:WORD_1 src1_sel:DWORD
	v_fma_f16 v6, v27, s11, -v35
	v_fma_f16 v7, v27, s14, -v39
	v_add_f16_e32 v4, v8, v4
	v_add_f16_e32 v5, v8, v5
	v_pk_add_f16 v24, v13, v16
	v_mul_f16_sdwa v37, v32, s1 dst_sel:DWORD dst_unused:UNUSED_PAD src0_sel:WORD_1 src1_sel:DWORD
	v_mul_f16_sdwa v41, v32, s17 dst_sel:DWORD dst_unused:UNUSED_PAD src0_sel:WORD_1 src1_sel:DWORD
	v_fma_f16 v20, v25, s14, -v36
	v_fma_f16 v21, v25, s7, -v40
	v_add_f16_e32 v4, v6, v4
	v_add_f16_e32 v5, v7, v5
	v_pk_add_f16 v42, v17, v12 neg_lo:[0,1] neg_hi:[0,1]
	v_fma_f16 v22, v24, s10, -v37
	v_fma_f16 v23, v24, s16, -v41
	v_add_f16_e32 v4, v20, v4
	v_add_f16_e32 v5, v21, v5
	v_pk_add_f16 v33, v12, v17
	v_mul_f16_sdwa v43, v42, s5 dst_sel:DWORD dst_unused:UNUSED_PAD src0_sel:WORD_1 src1_sel:DWORD
	v_add_f16_e32 v4, v22, v4
	v_add_f16_e32 v6, v23, v5
	v_fma_f16 v5, v33, s16, -v43
	v_mul_f16_sdwa v44, v42, s15 dst_sel:DWORD dst_unused:UNUSED_PAD src0_sel:WORD_1 src1_sel:DWORD
	v_add_f16_e32 v5, v5, v4
	v_fma_f16 v4, v33, s11, -v44
	v_mul_f16_sdwa v45, v29, s15 dst_sel:DWORD dst_unused:UNUSED_PAD src0_sel:WORD_1 src1_sel:DWORD
	;; [unrolled: 3-line block ×12, first 2 shown]
	v_add_f16_e32 v6, v6, v20
	v_fma_f16 v20, v29, s12, v47
	v_mul_f16_sdwa v48, v27, s11 dst_sel:DWORD dst_unused:UNUSED_PAD src0_sel:WORD_1 src1_sel:DWORD
	v_add_f16_sdwa v20, v8, v20 dst_sel:DWORD dst_unused:UNUSED_PAD src0_sel:WORD_1 src1_sel:DWORD
	v_fma_f16 v21, v30, s15, v48
	v_mul_f16_sdwa v53, v28, s10 dst_sel:DWORD dst_unused:UNUSED_PAD src0_sel:WORD_1 src1_sel:DWORD
	v_add_f16_e32 v20, v21, v20
	v_fma_f16 v21, v29, s13, v53
	v_mul_f16_sdwa v54, v27, s14 dst_sel:DWORD dst_unused:UNUSED_PAD src0_sel:WORD_1 src1_sel:DWORD
	v_add_f16_sdwa v21, v8, v21 dst_sel:DWORD dst_unused:UNUSED_PAD src0_sel:WORD_1 src1_sel:DWORD
	v_fma_f16 v22, v30, s0, v54
	v_mul_f16_sdwa v65, v28, s11 dst_sel:DWORD dst_unused:UNUSED_PAD src0_sel:WORD_1 src1_sel:DWORD
	v_add_f16_e32 v21, v22, v21
	v_fma_f16 v22, v29, s15, v65
	v_mul_f16_sdwa v66, v27, s10 dst_sel:DWORD dst_unused:UNUSED_PAD src0_sel:WORD_1 src1_sel:DWORD
	v_add_f16_sdwa v22, v8, v22 dst_sel:DWORD dst_unused:UNUSED_PAD src0_sel:WORD_1 src1_sel:DWORD
	v_fma_f16 v23, v30, s1, v66
	v_mul_f16_sdwa v70, v28, s14 dst_sel:DWORD dst_unused:UNUSED_PAD src0_sel:WORD_1 src1_sel:DWORD
	v_add_f16_e32 v22, v23, v22
	v_fma_f16 v23, v29, s18, v70
	v_mul_f16_sdwa v71, v27, s16 dst_sel:DWORD dst_unused:UNUSED_PAD src0_sel:WORD_1 src1_sel:DWORD
	v_add_f16_sdwa v23, v8, v23 dst_sel:DWORD dst_unused:UNUSED_PAD src0_sel:WORD_1 src1_sel:DWORD
	v_fma_f16 v52, v30, s5, v71
	v_add_f16_e32 v23, v52, v23
	v_mul_f16_sdwa v52, v25, s14 dst_sel:DWORD dst_unused:UNUSED_PAD src0_sel:WORD_1 src1_sel:DWORD
	v_fma_f16 v55, v31, s0, v52
	v_mul_f16_sdwa v57, v25, s7 dst_sel:DWORD dst_unused:UNUSED_PAD src0_sel:WORD_1 src1_sel:DWORD
	v_add_f16_e32 v20, v55, v20
	v_fma_f16 v55, v31, s4, v57
	v_mul_f16_sdwa v67, v25, s16 dst_sel:DWORD dst_unused:UNUSED_PAD src0_sel:WORD_1 src1_sel:DWORD
	v_add_f16_e32 v21, v55, v21
	v_fma_f16 v55, v31, s17, v67
	v_mul_f16_sdwa v72, v25, s11 dst_sel:DWORD dst_unused:UNUSED_PAD src0_sel:WORD_1 src1_sel:DWORD
	v_add_f16_e32 v22, v55, v22
	v_fma_f16 v55, v31, s15, v72
	v_add_f16_e32 v23, v55, v23
	v_mul_f16_sdwa v55, v24, s10 dst_sel:DWORD dst_unused:UNUSED_PAD src0_sel:WORD_1 src1_sel:DWORD
	v_fma_f16 v56, v32, s1, v55
	v_mul_f16_sdwa v62, v24, s16 dst_sel:DWORD dst_unused:UNUSED_PAD src0_sel:WORD_1 src1_sel:DWORD
	v_add_f16_e32 v20, v56, v20
	v_fma_f16 v56, v32, s17, v62
	v_mul_f16_sdwa v68, v24, s14 dst_sel:DWORD dst_unused:UNUSED_PAD src0_sel:WORD_1 src1_sel:DWORD
	v_add_f16_e32 v21, v56, v21
	;; [unrolled: 3-line block ×3, first 2 shown]
	v_fma_f16 v56, v32, s4, v73
	v_add_f16_e32 v23, v56, v23
	v_mul_f16_sdwa v56, v33, s16 dst_sel:DWORD dst_unused:UNUSED_PAD src0_sel:WORD_1 src1_sel:DWORD
	v_fma_f16 v64, v42, s5, v56
	v_add_f16_e32 v20, v64, v20
	v_mul_f16_sdwa v64, v33, s11 dst_sel:DWORD dst_unused:UNUSED_PAD src0_sel:WORD_1 src1_sel:DWORD
	;; [unrolled: 3-line block ×4, first 2 shown]
	v_fma_f16 v75, v42, s13, v74
	v_add_f16_e32 v23, v75, v23
	v_cmp_gt_u32_e64 s[0:1], 60, v0
	s_barrier
	s_and_saveexec_b64 s[4:5], s[0:1]
	s_cbranch_execz .LBB0_19
; %bb.18:
	v_mul_f16_e32 v82, 0xb482, v29
	v_sub_f16_e32 v70, v70, v82
	v_mul_f16_e32 v82, 0x3853, v30
	v_mul_f16_e32 v81, 0xbbad, v28
	v_sub_f16_e32 v71, v71, v82
	v_add_f16_sdwa v70, v8, v70 dst_sel:DWORD dst_unused:UNUSED_PAD src0_sel:WORD_1 src1_sel:DWORD
	v_pk_add_f16 v9, v8, v9
	v_mul_f16_e32 v80, 0xba0c, v29
	v_add_f16_e32 v70, v71, v70
	v_mul_f16_e32 v71, 0xba0c, v31
	v_add_f16_e32 v58, v81, v58
	v_mul_f16_e32 v81, 0x3abb, v27
	v_pk_add_f16 v9, v9, v14
	v_sub_f16_e32 v71, v72, v71
	v_add_f16_e32 v59, v81, v59
	v_mul_f16_e32 v81, 0x3beb, v30
	v_add_f16_e32 v58, v8, v58
	v_sub_f16_e32 v65, v65, v80
	v_pk_add_f16 v9, v9, v15
	v_add_f16_e32 v70, v71, v70
	v_mul_f16_e32 v71, 0x3b47, v32
	v_add_f16_e32 v58, v59, v58
	v_mul_f16_e32 v59, 0xb93d, v25
	v_sub_f16_e32 v66, v66, v81
	v_mul_f16_e32 v81, 0xb853, v31
	v_add_f16_sdwa v65, v8, v65 dst_sel:DWORD dst_unused:UNUSED_PAD src0_sel:WORD_1 src1_sel:DWORD
	v_pk_add_f16 v9, v9, v16
	v_sub_f16_e32 v71, v73, v71
	v_add_f16_e32 v59, v59, v60
	v_add_f16_e32 v65, v66, v65
	v_sub_f16_e32 v67, v67, v81
	v_pk_add_f16 v9, v9, v17
	v_add_f16_e32 v70, v71, v70
	v_mul_f16_e32 v71, 0xbbeb, v42
	v_add_f16_e32 v58, v59, v58
	v_mul_f16_e32 v59, 0x36a6, v24
	;; [unrolled: 2-line block ×3, first 2 shown]
	v_pk_add_f16 v9, v9, v12
	v_mul_f16_e32 v77, 0xb08e, v28
	v_mul_f16_e32 v79, 0xb93d, v28
	v_sub_f16_e32 v71, v74, v71
	v_add_f16_e32 v59, v59, v61
	v_sub_f16_e32 v67, v68, v67
	v_pk_add_f16 v9, v9, v13
	v_mul_f16_e32 v76, 0xbb47, v29
	v_mul_f16_e32 v78, 0xbbeb, v29
	;; [unrolled: 1-line block ×3, first 2 shown]
	v_add_f16_e32 v70, v71, v70
	v_mul_f16_e32 v71, 0xb08e, v27
	v_add_f16_e32 v58, v59, v58
	v_mul_f16_e32 v59, 0xb08e, v33
	;; [unrolled: 2-line block ×3, first 2 shown]
	v_add_f16_e32 v45, v79, v45
	v_add_f16_e32 v38, v77, v38
	v_pk_mul_f16 v29, v29, s17 op_sel_hi:[1,0]
	v_pk_add_f16 v9, v9, v10
	v_mul_f16_e32 v75, 0x36a6, v28
	v_mul_f16_e32 v72, 0xba0c, v30
	v_mul_f16_e32 v74, 0x3482, v30
	v_add_f16_e32 v59, v59, v63
	v_mul_f16_e32 v63, 0x36a6, v25
	v_mul_f16_e32 v80, 0x3abb, v25
	v_sub_f16_e32 v67, v69, v67
	v_add_f16_e32 v46, v71, v46
	v_add_f16_e32 v45, v8, v45
	;; [unrolled: 1-line block ×4, first 2 shown]
	v_pk_mul_f16 v30, v30, s12 op_sel_hi:[1,0]
	v_pk_add_f16 v9, v9, v11
	v_pk_fma_f16 v10, v28, s16, v29 op_sel:[0,0,1] op_sel_hi:[1,0,0]
	v_pk_fma_f16 v11, v28, s16, v29 op_sel:[0,0,1] op_sel_hi:[1,0,0] neg_lo:[0,0,1] neg_hi:[0,0,1]
	s_mov_b32 s0, 0xffff
	v_mul_f16_e32 v82, 0xb93d, v27
	v_mul_f16_e32 v68, 0x3abb, v24
	v_add_f16_e32 v65, v67, v65
	v_mul_f16_e32 v67, 0xbbad, v24
	v_add_f16_e32 v45, v46, v45
	v_add_f16_e32 v49, v80, v49
	;; [unrolled: 1-line block ×5, first 2 shown]
	v_bfi_b32 v12, s0, v10, v11
	v_pk_fma_f16 v13, v27, s7, v30 op_sel:[0,0,1] op_sel_hi:[1,0,0]
	v_pk_fma_f16 v14, v27, s7, v30 op_sel:[0,0,1] op_sel_hi:[1,0,0] neg_lo:[0,0,1] neg_hi:[0,0,1]
	v_mul_f16_e32 v60, 0xbbad, v25
	v_mul_f16_e32 v61, 0x3482, v31
	v_add_f16_e32 v58, v59, v58
	v_mul_f16_e32 v59, 0x3b47, v31
	v_mul_f16_e32 v46, 0xb93d, v33
	v_add_f16_e32 v45, v49, v45
	v_mul_f16_e32 v49, 0x36a6, v33
	v_add_f16_e32 v50, v67, v50
	v_add_f16_e32 v38, v39, v38
	;; [unrolled: 1-line block ×5, first 2 shown]
	v_pk_mul_f16 v31, v31, s13 op_sel_hi:[1,0]
	v_pk_add_f16 v12, v8, v12
	v_bfi_b32 v15, s0, v13, v14
	v_mul_f16_e32 v66, 0xb08e, v24
	v_add_f16_e32 v45, v50, v45
	v_add_f16_e32 v49, v49, v51
	;; [unrolled: 1-line block ×6, first 2 shown]
	v_pk_add_f16 v12, v15, v12
	v_pk_fma_f16 v15, v25, s10, v31 op_sel:[0,0,1] op_sel_hi:[1,0,0]
	v_pk_fma_f16 v16, v25, s10, v31 op_sel:[0,0,1] op_sel_hi:[1,0,0] neg_lo:[0,0,1] neg_hi:[0,0,1]
	v_mul_f16_e32 v81, 0x3beb, v32
	v_mul_f16_e32 v69, 0xb853, v32
	;; [unrolled: 1-line block ×3, first 2 shown]
	v_add_f16_e32 v45, v49, v45
	v_sub_f16_e32 v49, v53, v78
	v_add_f16_e32 v38, v39, v38
	v_sub_f16_e32 v39, v47, v76
	v_add_f16_e32 v34, v35, v34
	v_add_f16_e32 v35, v66, v37
	v_pk_mul_f16 v32, v32, s15 op_sel_hi:[1,0]
	v_bfi_b32 v17, s0, v15, v16
	v_add_f16_sdwa v49, v8, v49 dst_sel:DWORD dst_unused:UNUSED_PAD src0_sel:WORD_1 src1_sel:DWORD
	v_sub_f16_e32 v50, v54, v74
	v_add_f16_sdwa v39, v8, v39 dst_sel:DWORD dst_unused:UNUSED_PAD src0_sel:WORD_1 src1_sel:DWORD
	v_sub_f16_e32 v40, v48, v72
	v_add_f16_e32 v34, v35, v34
	v_add_f16_e32 v35, v79, v43
	v_pk_add_f16 v12, v17, v12
	v_pk_fma_f16 v17, v24, s11, v32 op_sel:[0,0,1] op_sel_hi:[1,0,0]
	v_pk_fma_f16 v24, v24, s11, v32 op_sel:[0,0,1] op_sel_hi:[1,0,0] neg_lo:[0,0,1] neg_hi:[0,0,1]
	v_add_f16_e32 v49, v50, v49
	v_sub_f16_e32 v50, v57, v59
	v_add_f16_e32 v39, v40, v39
	v_sub_f16_e32 v40, v52, v61
	v_add_f16_e32 v34, v35, v34
	v_pk_mul_f16 v35, v42, s18 op_sel_hi:[1,0]
	v_bfi_b32 v25, s0, v17, v24
	v_mul_f16_e32 v71, 0x3853, v42
	v_mul_f16_e32 v80, 0xba0c, v42
	v_add_f16_e32 v49, v50, v49
	v_sub_f16_e32 v50, v62, v69
	v_add_f16_e32 v39, v40, v39
	v_sub_f16_e32 v40, v55, v81
	v_pk_add_f16 v9, v9, v26
	v_pk_add_f16 v12, v25, v12
	v_pk_fma_f16 v25, v33, s14, v35 op_sel:[0,0,1] op_sel_hi:[1,0,0]
	v_pk_fma_f16 v26, v33, s14, v35 op_sel:[0,0,1] op_sel_hi:[1,0,0] neg_lo:[0,0,1] neg_hi:[0,0,1]
	v_add_f16_e32 v49, v50, v49
	v_sub_f16_e32 v50, v64, v80
	v_add_f16_e32 v39, v40, v39
	v_sub_f16_e32 v40, v56, v71
	v_bfi_b32 v27, s0, v25, v26
	v_add_f16_e32 v49, v50, v49
	v_add_f16_e32 v39, v40, v39
	v_mad_u32_u24 v36, v0, 40, v18
	v_pk_add_f16 v12, v27, v12
	ds_write2_b32 v36, v9, v12 offset1:1
	v_pack_b32_f16 v9, v38, v49
	v_pack_b32_f16 v12, v34, v39
	ds_write2_b32 v36, v12, v9 offset0:2 offset1:3
	v_pack_b32_f16 v9, v58, v70
	v_pack_b32_f16 v12, v45, v65
	ds_write2_b32 v36, v12, v9 offset0:4 offset1:5
	v_perm_b32 v9, v22, v7, s6
	v_perm_b32 v12, v23, v6, s6
	ds_write2_b32 v36, v12, v9 offset0:6 offset1:7
	v_perm_b32 v9, v20, v5, s6
	v_perm_b32 v12, v21, v4, s6
	ds_write2_b32 v36, v12, v9 offset0:8 offset1:9
	v_bfi_b32 v9, s0, v11, v10
	v_pk_add_f16 v8, v8, v9
	v_bfi_b32 v9, s0, v14, v13
	v_pk_add_f16 v8, v9, v8
	;; [unrolled: 2-line block ×5, first 2 shown]
	ds_write_b32 v36, v8 offset:40
.LBB0_19:
	s_or_b64 exec, exec, s[4:5]
	s_movk_i32 s0, 0x75
	v_mul_lo_u16_sdwa v8, v0, s0 dst_sel:DWORD dst_unused:UNUSED_PAD src0_sel:BYTE_0 src1_sel:DWORD
	v_sub_u16_sdwa v9, v0, v8 dst_sel:DWORD dst_unused:UNUSED_PAD src0_sel:DWORD src1_sel:BYTE_1
	v_lshrrev_b16_e32 v9, 1, v9
	v_and_b32_e32 v9, 0x7f, v9
	v_add_u16_sdwa v8, v9, v8 dst_sel:DWORD dst_unused:UNUSED_PAD src0_sel:DWORD src1_sel:BYTE_1
	v_lshrrev_b16_e32 v24, 3, v8
	v_mul_lo_u16_e32 v8, 11, v24
	v_sub_u16_e32 v25, v0, v8
	v_mov_b32_e32 v8, 5
	v_mul_u32_u24_sdwa v8, v25, v8 dst_sel:DWORD dst_unused:UNUSED_PAD src0_sel:BYTE_0 src1_sel:DWORD
	v_lshlrev_b32_e32 v12, 2, v8
	s_waitcnt lgkmcnt(0)
	s_barrier
	global_load_dwordx4 v[8:11], v12, s[8:9]
	global_load_dword v26, v12, s[8:9] offset:16
	ds_read2_b32 v[12:13], v18 offset1:110
	ds_read2_b32 v[14:15], v1 offset0:92 offset1:202
	ds_read2_b32 v[16:17], v19 offset0:56 offset1:166
	s_movk_i32 s1, 0x3aee
	s_mov_b32 s0, 0xbaee
	s_waitcnt lgkmcnt(2)
	v_lshrrev_b32_e32 v19, 16, v13
	s_waitcnt lgkmcnt(1)
	v_lshrrev_b32_e32 v28, 16, v15
	v_lshrrev_b32_e32 v27, 16, v14
	s_waitcnt lgkmcnt(0)
	v_lshrrev_b32_e32 v29, 16, v16
	v_lshrrev_b32_e32 v30, 16, v17
	;; [unrolled: 1-line block ×3, first 2 shown]
	v_mul_u32_u24_e32 v24, 0x108, v24
	s_waitcnt vmcnt(0)
	s_barrier
	v_mul_f16_sdwa v31, v8, v19 dst_sel:DWORD dst_unused:UNUSED_PAD src0_sel:WORD_1 src1_sel:DWORD
	v_mul_f16_sdwa v32, v8, v13 dst_sel:DWORD dst_unused:UNUSED_PAD src0_sel:WORD_1 src1_sel:DWORD
	;; [unrolled: 1-line block ×10, first 2 shown]
	v_fma_f16 v13, v8, v13, v31
	v_fma_f16 v8, v8, v19, -v32
	v_fma_f16 v15, v10, v15, v35
	v_fma_f16 v10, v10, v28, -v36
	v_fma_f16 v19, v26, v30, -v40
	v_fma_f16 v14, v9, v14, v33
	v_fma_f16 v9, v9, v27, -v34
	v_fma_f16 v16, v11, v16, v37
	;; [unrolled: 2-line block ×3, first 2 shown]
	v_sub_f16_e32 v32, v10, v19
	v_add_f16_e32 v33, v8, v10
	v_add_f16_e32 v10, v10, v19
	;; [unrolled: 1-line block ×4, first 2 shown]
	v_sub_f16_e32 v28, v9, v11
	v_add_f16_e32 v29, v1, v9
	v_add_f16_e32 v9, v9, v11
	;; [unrolled: 1-line block ×4, first 2 shown]
	v_sub_f16_e32 v15, v15, v17
	v_fma_f16 v8, v10, -0.5, v8
	v_sub_f16_e32 v14, v14, v16
	v_add_f16_e32 v16, v26, v16
	v_fma_f16 v12, v27, -0.5, v12
	v_add_f16_e32 v26, v29, v11
	v_fma_f16 v1, v9, -0.5, v1
	;; [unrolled: 2-line block ×3, first 2 shown]
	v_fma_f16 v17, v15, s1, v8
	v_add_f16_e32 v13, v33, v19
	v_fma_f16 v19, v28, s0, v12
	v_fma_f16 v27, v28, s1, v12
	;; [unrolled: 1-line block ×5, first 2 shown]
	v_add_f16_e32 v8, v16, v9
	v_sub_f16_e32 v11, v16, v9
	v_mul_f16_e32 v9, 0xbaee, v17
	v_fma_f16 v28, v14, s1, v1
	v_fma_f16 v29, v14, s0, v1
	v_add_f16_e32 v1, v26, v13
	v_sub_f16_e32 v14, v26, v13
	v_mul_f16_e32 v13, 0xbaee, v15
	v_mul_f16_e32 v16, 0.5, v17
	v_mul_f16_e32 v15, -0.5, v15
	v_fma_f16 v26, v10, 0.5, v9
	v_fma_f16 v13, v12, -0.5, v13
	v_fma_f16 v16, v10, s1, v16
	v_fma_f16 v30, v12, s1, v15
	v_add_f16_e32 v9, v19, v26
	v_sub_f16_e32 v12, v19, v26
	v_mov_b32_e32 v26, 2
	v_add_f16_e32 v15, v28, v16
	v_lshlrev_b32_sdwa v25, v26, v25 dst_sel:DWORD dst_unused:UNUSED_PAD src0_sel:DWORD src1_sel:BYTE_0
	v_add_f16_e32 v10, v27, v13
	v_add_f16_e32 v17, v29, v30
	v_add3_u32 v24, 0, v24, v25
	v_pack_b32_f16 v25, v8, v1
	v_pack_b32_f16 v26, v9, v15
	v_sub_f16_e32 v13, v27, v13
	v_sub_f16_e32 v19, v28, v16
	v_sub_f16_e32 v16, v29, v30
	ds_write2_b32 v24, v25, v26 offset1:11
	v_pack_b32_f16 v25, v10, v17
	v_pack_b32_f16 v26, v11, v14
	s_movk_i32 s0, 0x42
	ds_write2_b32 v24, v25, v26 offset0:22 offset1:33
	v_pack_b32_f16 v25, v12, v19
	v_pack_b32_f16 v26, v13, v16
	v_cmp_gt_u32_e64 s[0:1], s0, v0
	ds_write2_b32 v24, v25, v26 offset0:44 offset1:55
	s_waitcnt lgkmcnt(0)
	s_barrier
	s_and_saveexec_b64 s[4:5], s[0:1]
	s_cbranch_execz .LBB0_21
; %bb.20:
	v_add_u32_e32 v1, 0x800, v18
	v_add_u32_e32 v6, 0x400, v18
	ds_read2_b32 v[8:9], v18 offset1:66
	ds_read2_b32 v[10:11], v18 offset0:132 offset1:198
	ds_read2_b32 v[4:5], v1 offset0:16 offset1:82
	;; [unrolled: 1-line block ×4, first 2 shown]
	s_waitcnt lgkmcnt(4)
	v_lshrrev_b32_e32 v1, 16, v8
	v_lshrrev_b32_e32 v15, 16, v9
	s_waitcnt lgkmcnt(2)
	v_lshrrev_b32_e32 v21, 16, v4
	v_lshrrev_b32_e32 v20, 16, v5
	v_lshrrev_b32_e32 v17, 16, v10
	v_lshrrev_b32_e32 v14, 16, v11
	s_waitcnt lgkmcnt(1)
	v_lshrrev_b32_e32 v19, 16, v12
	v_lshrrev_b32_e32 v16, 16, v13
	s_waitcnt lgkmcnt(0)
	v_lshrrev_b32_e32 v23, 16, v6
	v_lshrrev_b32_e32 v22, 16, v7
.LBB0_21:
	s_or_b64 exec, exec, s[4:5]
	s_barrier
	s_and_saveexec_b64 s[4:5], s[0:1]
	s_cbranch_execz .LBB0_23
; %bb.22:
	v_add_u32_e32 v24, 0xffffffbe, v0
	v_cndmask_b32_e64 v24, v24, v0, s[0:1]
	v_mul_i32_i24_e32 v24, 9, v24
	v_mov_b32_e32 v25, 0
	v_lshlrev_b64 v[24:25], 2, v[24:25]
	v_mov_b32_e32 v26, s9
	v_add_co_u32_e64 v32, s[0:1], s8, v24
	v_addc_co_u32_e64 v33, s[0:1], v26, v25, s[0:1]
	global_load_dwordx4 v[24:27], v[32:33], off offset:220
	global_load_dwordx4 v[28:31], v[32:33], off offset:236
	global_load_dword v34, v[32:33], off offset:252
	s_mov_b32 s0, 0xbb9c
	s_movk_i32 s7, 0x3b9c
	s_mov_b32 s1, 0xb8b4
	s_movk_i32 s8, 0x38b4
	s_movk_i32 s6, 0x34f2
	;; [unrolled: 1-line block ×3, first 2 shown]
	s_mov_b32 s10, 0xb4f2
	s_mov_b32 s9, 0xba79
	s_waitcnt vmcnt(2)
	v_mul_f16_sdwa v32, v10, v25 dst_sel:DWORD dst_unused:UNUSED_PAD src0_sel:DWORD src1_sel:WORD_1
	v_mul_f16_sdwa v33, v12, v27 dst_sel:DWORD dst_unused:UNUSED_PAD src0_sel:DWORD src1_sel:WORD_1
	s_waitcnt vmcnt(1)
	v_mul_f16_sdwa v35, v4, v31 dst_sel:DWORD dst_unused:UNUSED_PAD src0_sel:DWORD src1_sel:WORD_1
	v_mul_f16_sdwa v36, v6, v29 dst_sel:DWORD dst_unused:UNUSED_PAD src0_sel:DWORD src1_sel:WORD_1
	v_mul_f16_sdwa v37, v17, v25 dst_sel:DWORD dst_unused:UNUSED_PAD src0_sel:DWORD src1_sel:WORD_1
	v_mul_f16_sdwa v38, v21, v31 dst_sel:DWORD dst_unused:UNUSED_PAD src0_sel:DWORD src1_sel:WORD_1
	v_mul_f16_sdwa v39, v19, v27 dst_sel:DWORD dst_unused:UNUSED_PAD src0_sel:DWORD src1_sel:WORD_1
	v_mul_f16_sdwa v40, v23, v29 dst_sel:DWORD dst_unused:UNUSED_PAD src0_sel:DWORD src1_sel:WORD_1
	v_mul_f16_sdwa v41, v14, v26 dst_sel:DWORD dst_unused:UNUSED_PAD src0_sel:DWORD src1_sel:WORD_1
	v_mul_f16_sdwa v42, v16, v28 dst_sel:DWORD dst_unused:UNUSED_PAD src0_sel:DWORD src1_sel:WORD_1
	s_waitcnt vmcnt(0)
	v_mul_f16_sdwa v43, v20, v34 dst_sel:DWORD dst_unused:UNUSED_PAD src0_sel:DWORD src1_sel:WORD_1
	v_mul_f16_sdwa v44, v22, v30 dst_sel:DWORD dst_unused:UNUSED_PAD src0_sel:DWORD src1_sel:WORD_1
	;; [unrolled: 1-line block ×7, first 2 shown]
	v_fma_f16 v17, v17, v25, -v32
	v_fma_f16 v19, v19, v27, -v33
	;; [unrolled: 1-line block ×4, first 2 shown]
	v_mul_f16_sdwa v47, v5, v34 dst_sel:DWORD dst_unused:UNUSED_PAD src0_sel:DWORD src1_sel:WORD_1
	v_fma_f16 v10, v10, v25, v37
	v_fma_f16 v4, v4, v31, v38
	;; [unrolled: 1-line block ×7, first 2 shown]
	v_fma_f16 v14, v14, v26, -v46
	v_fma_f16 v16, v16, v28, -v48
	;; [unrolled: 1-line block ×4, first 2 shown]
	v_sub_f16_e32 v24, v17, v19
	v_sub_f16_e32 v25, v21, v23
	v_add_f16_e32 v26, v19, v23
	v_fma_f16 v12, v12, v27, v39
	v_fma_f16 v6, v6, v29, v40
	v_sub_f16_e32 v27, v10, v4
	v_sub_f16_e32 v29, v11, v13
	;; [unrolled: 1-line block ×3, first 2 shown]
	v_add_f16_e32 v31, v13, v7
	v_add_f16_e32 v36, v16, v22
	;; [unrolled: 1-line block ×3, first 2 shown]
	v_fma_f16 v25, v26, -0.5, v1
	v_fma_f16 v20, v20, v34, -v47
	v_sub_f16_e32 v28, v12, v6
	v_add_f16_e32 v26, v29, v30
	v_fma_f16 v29, v31, -0.5, v9
	v_fma_f16 v31, v36, -0.5, v15
	v_fma_f16 v36, v27, s0, v25
	v_fma_f16 v25, v27, s7, v25
	v_sub_f16_e32 v32, v14, v20
	v_sub_f16_e32 v34, v14, v16
	;; [unrolled: 1-line block ×5, first 2 shown]
	v_fma_f16 v36, v28, s1, v36
	v_fma_f16 v25, v28, s8, v25
	v_sub_f16_e32 v33, v16, v22
	v_add_f16_e32 v30, v34, v35
	v_add_f16_e32 v34, v39, v40
	v_fma_f16 v39, v32, s7, v29
	v_fma_f16 v36, v24, s6, v36
	v_sub_f16_e32 v47, v16, v14
	v_sub_f16_e32 v48, v22, v20
	v_fma_f16 v24, v24, s6, v25
	v_fma_f16 v25, v32, s0, v29
	v_sub_f16_e32 v37, v11, v5
	v_fma_f16 v39, v33, s8, v39
	v_add_f16_e32 v47, v47, v48
	v_add_f16_e32 v48, v14, v20
	v_fma_f16 v25, v33, s1, v25
	v_add_f16_e32 v14, v15, v14
	v_sub_f16_e32 v38, v13, v7
	v_fma_f16 v40, v37, s0, v31
	v_fma_f16 v39, v26, s6, v39
	v_fma_f16 v25, v26, s6, v25
	v_fma_f16 v26, v37, s7, v31
	v_add_f16_e32 v14, v14, v16
	v_add_f16_e32 v41, v17, v21
	v_fma_f16 v40, v38, s1, v40
	v_fma_f16 v26, v38, s8, v26
	v_add_f16_e32 v14, v14, v22
	v_fma_f16 v35, v41, -0.5, v1
	v_fma_f16 v40, v30, s6, v40
	v_sub_f16_e32 v44, v13, v11
	v_sub_f16_e32 v45, v7, v5
	v_fma_f16 v26, v30, s6, v26
	v_add_f16_e32 v14, v14, v20
	v_sub_f16_e32 v16, v10, v12
	v_sub_f16_e32 v20, v4, v6
	v_sub_f16_e32 v29, v12, v10
	v_sub_f16_e32 v30, v6, v4
	v_fma_f16 v41, v28, s7, v35
	v_add_f16_e32 v44, v44, v45
	v_add_f16_e32 v45, v11, v5
	v_fma_f16 v35, v28, s0, v35
	v_add_f16_e32 v16, v16, v20
	v_add_f16_e32 v20, v12, v6
	;; [unrolled: 1-line block ×4, first 2 shown]
	v_fma_f16 v41, v27, s1, v41
	v_fma_f16 v45, v45, -0.5, v9
	v_fma_f16 v35, v27, s8, v35
	v_add_f16_e32 v1, v1, v17
	v_fma_f16 v20, v20, -0.5, v8
	v_fma_f16 v30, v30, -0.5, v8
	v_add_f16_e32 v8, v8, v10
	v_fma_f16 v41, v34, s6, v41
	v_fma_f16 v46, v33, s0, v45
	;; [unrolled: 1-line block ×4, first 2 shown]
	v_add_f16_e32 v1, v1, v19
	v_sub_f16_e32 v19, v19, v23
	v_add_f16_e32 v8, v8, v12
	v_fma_f16 v46, v32, s8, v46
	v_fma_f16 v48, v48, -0.5, v15
	v_fma_f16 v35, v32, s1, v35
	v_add_f16_e32 v1, v1, v23
	v_sub_f16_e32 v17, v17, v21
	v_fma_f16 v31, v19, s0, v30
	v_fma_f16 v30, v19, s7, v30
	v_add_f16_e32 v6, v8, v6
	v_fma_f16 v46, v44, s6, v46
	v_fma_f16 v49, v38, s7, v48
	;; [unrolled: 1-line block ×4, first 2 shown]
	v_add_f16_e32 v1, v1, v21
	v_fma_f16 v21, v17, s7, v20
	v_fma_f16 v31, v17, s8, v31
	;; [unrolled: 1-line block ×4, first 2 shown]
	v_add_f16_e32 v4, v6, v4
	v_add_f16_e32 v6, v9, v11
	v_fma_f16 v49, v37, s1, v49
	v_fma_f16 v44, v37, s8, v44
	;; [unrolled: 1-line block ×4, first 2 shown]
	v_add_f16_e32 v6, v6, v13
	v_fma_f16 v49, v47, s6, v49
	v_fma_f16 v44, v47, s6, v44
	v_mul_f16_e32 v27, 0x3a79, v26
	v_fma_f16 v21, v16, s6, v21
	v_fma_f16 v16, v16, s6, v17
	v_mul_f16_e32 v17, 0xb8b4, v26
	v_add_f16_e32 v6, v6, v7
	v_mul_f16_e32 v50, 0xb4f2, v49
	v_mul_f16_e32 v45, 0x34f2, v44
	v_fma_f16 v27, v25, s8, v27
	v_fma_f16 v31, v29, s6, v31
	v_mul_f16_e32 v32, 0xbb9c, v49
	v_fma_f16 v29, v29, s6, v30
	v_mul_f16_e32 v30, 0xbb9c, v44
	v_fma_f16 v17, v25, s11, v17
	v_add_f16_e32 v5, v6, v5
	v_mul_f16_e32 v42, 0xba79, v40
	v_fma_f16 v50, v46, s7, v50
	v_fma_f16 v45, v35, s7, v45
	v_sub_f16_e32 v15, v1, v14
	v_mul_f16_e32 v22, 0xb8b4, v40
	v_fma_f16 v32, v46, s10, v32
	v_fma_f16 v30, v35, s6, v30
	v_sub_f16_e32 v6, v4, v5
	v_add_f16_e32 v10, v24, v27
	v_add_f16_e32 v1, v1, v14
	;; [unrolled: 1-line block ×4, first 2 shown]
	v_fma_f16 v42, v39, s8, v42
	v_fma_f16 v22, v39, s9, v22
	v_add_f16_e32 v8, v41, v50
	v_add_f16_e32 v9, v34, v45
	;; [unrolled: 1-line block ×4, first 2 shown]
	v_pack_b32_f16 v1, v4, v1
	v_pack_b32_f16 v4, v14, v10
	v_add_f16_e32 v7, v36, v42
	v_add_f16_e32 v11, v21, v22
	ds_write2_b32 v18, v1, v4 offset1:66
	v_pack_b32_f16 v1, v13, v9
	v_pack_b32_f16 v4, v12, v8
	v_sub_f16_e32 v47, v34, v45
	v_sub_f16_e32 v28, v24, v27
	v_sub_f16_e32 v35, v29, v30
	v_sub_f16_e32 v19, v16, v17
	ds_write2_b32 v18, v1, v4 offset0:132 offset1:198
	v_pack_b32_f16 v1, v11, v7
	v_pack_b32_f16 v4, v6, v15
	v_add_u32_e32 v5, 0x400, v18
	v_sub_f16_e32 v43, v36, v42
	v_sub_f16_e32 v51, v41, v50
	;; [unrolled: 1-line block ×4, first 2 shown]
	ds_write2_b32 v5, v1, v4 offset0:8 offset1:74
	v_pack_b32_f16 v1, v19, v28
	v_pack_b32_f16 v4, v35, v47
	ds_write2_b32 v5, v1, v4 offset0:140 offset1:206
	v_pack_b32_f16 v1, v33, v51
	v_pack_b32_f16 v4, v23, v43
	v_add_u32_e32 v5, 0x800, v18
	ds_write2_b32 v5, v1, v4 offset0:16 offset1:82
.LBB0_23:
	s_or_b64 exec, exec, s[4:5]
	s_waitcnt lgkmcnt(0)
	s_barrier
	s_and_saveexec_b64 s[0:1], vcc
	s_cbranch_execz .LBB0_25
; %bb.24:
	v_lshl_add_u32 v6, v0, 2, 0
	v_mov_b32_e32 v1, 0
	ds_read2_b32 v[4:5], v6 offset1:110
	v_mov_b32_e32 v7, s3
	v_add_co_u32_e32 v8, vcc, s2, v2
	v_addc_co_u32_e32 v7, vcc, v7, v3, vcc
	v_lshlrev_b64 v[2:3], 2, v[0:1]
	v_add_co_u32_e32 v2, vcc, v8, v2
	v_addc_co_u32_e32 v3, vcc, v7, v3, vcc
	s_waitcnt lgkmcnt(0)
	global_store_dword v[2:3], v4, off
	v_add_u32_e32 v2, 0x6e, v0
	v_mov_b32_e32 v3, v1
	v_lshlrev_b64 v[2:3], 2, v[2:3]
	v_add_u32_e32 v4, 0x200, v6
	v_add_co_u32_e32 v2, vcc, v8, v2
	v_addc_co_u32_e32 v3, vcc, v7, v3, vcc
	global_store_dword v[2:3], v5, off
	v_add_u32_e32 v2, 0xdc, v0
	v_mov_b32_e32 v3, v1
	ds_read2_b32 v[4:5], v4 offset0:92 offset1:202
	v_lshlrev_b64 v[2:3], 2, v[2:3]
	v_add_co_u32_e32 v2, vcc, v8, v2
	v_addc_co_u32_e32 v3, vcc, v7, v3, vcc
	s_waitcnt lgkmcnt(0)
	global_store_dword v[2:3], v4, off
	v_add_u32_e32 v2, 0x14a, v0
	v_mov_b32_e32 v3, v1
	v_lshlrev_b64 v[2:3], 2, v[2:3]
	v_add_u32_e32 v4, 0x600, v6
	v_add_co_u32_e32 v2, vcc, v8, v2
	v_addc_co_u32_e32 v3, vcc, v7, v3, vcc
	global_store_dword v[2:3], v5, off
	v_add_u32_e32 v2, 0x1b8, v0
	v_mov_b32_e32 v3, v1
	v_lshlrev_b64 v[2:3], 2, v[2:3]
	ds_read2_b32 v[4:5], v4 offset0:56 offset1:166
	v_add_u32_e32 v0, 0x226, v0
	v_add_co_u32_e32 v2, vcc, v8, v2
	v_lshlrev_b64 v[0:1], 2, v[0:1]
	v_addc_co_u32_e32 v3, vcc, v7, v3, vcc
	v_add_co_u32_e32 v0, vcc, v8, v0
	v_addc_co_u32_e32 v1, vcc, v7, v1, vcc
	s_waitcnt lgkmcnt(0)
	global_store_dword v[2:3], v4, off
	global_store_dword v[0:1], v5, off
.LBB0_25:
	s_endpgm
	.section	.rodata,"a",@progbits
	.p2align	6, 0x0
	.amdhsa_kernel fft_rtc_back_len660_factors_11_6_10_wgs_110_tpt_110_halfLds_half_ip_CI_unitstride_sbrr_C2R_dirReg
		.amdhsa_group_segment_fixed_size 0
		.amdhsa_private_segment_fixed_size 0
		.amdhsa_kernarg_size 88
		.amdhsa_user_sgpr_count 6
		.amdhsa_user_sgpr_private_segment_buffer 1
		.amdhsa_user_sgpr_dispatch_ptr 0
		.amdhsa_user_sgpr_queue_ptr 0
		.amdhsa_user_sgpr_kernarg_segment_ptr 1
		.amdhsa_user_sgpr_dispatch_id 0
		.amdhsa_user_sgpr_flat_scratch_init 0
		.amdhsa_user_sgpr_private_segment_size 0
		.amdhsa_uses_dynamic_stack 0
		.amdhsa_system_sgpr_private_segment_wavefront_offset 0
		.amdhsa_system_sgpr_workgroup_id_x 1
		.amdhsa_system_sgpr_workgroup_id_y 0
		.amdhsa_system_sgpr_workgroup_id_z 0
		.amdhsa_system_sgpr_workgroup_info 0
		.amdhsa_system_vgpr_workitem_id 0
		.amdhsa_next_free_vgpr 83
		.amdhsa_next_free_sgpr 22
		.amdhsa_reserve_vcc 1
		.amdhsa_reserve_flat_scratch 0
		.amdhsa_float_round_mode_32 0
		.amdhsa_float_round_mode_16_64 0
		.amdhsa_float_denorm_mode_32 3
		.amdhsa_float_denorm_mode_16_64 3
		.amdhsa_dx10_clamp 1
		.amdhsa_ieee_mode 1
		.amdhsa_fp16_overflow 0
		.amdhsa_exception_fp_ieee_invalid_op 0
		.amdhsa_exception_fp_denorm_src 0
		.amdhsa_exception_fp_ieee_div_zero 0
		.amdhsa_exception_fp_ieee_overflow 0
		.amdhsa_exception_fp_ieee_underflow 0
		.amdhsa_exception_fp_ieee_inexact 0
		.amdhsa_exception_int_div_zero 0
	.end_amdhsa_kernel
	.text
.Lfunc_end0:
	.size	fft_rtc_back_len660_factors_11_6_10_wgs_110_tpt_110_halfLds_half_ip_CI_unitstride_sbrr_C2R_dirReg, .Lfunc_end0-fft_rtc_back_len660_factors_11_6_10_wgs_110_tpt_110_halfLds_half_ip_CI_unitstride_sbrr_C2R_dirReg
                                        ; -- End function
	.section	.AMDGPU.csdata,"",@progbits
; Kernel info:
; codeLenInByte = 6852
; NumSgprs: 26
; NumVgprs: 83
; ScratchSize: 0
; MemoryBound: 0
; FloatMode: 240
; IeeeMode: 1
; LDSByteSize: 0 bytes/workgroup (compile time only)
; SGPRBlocks: 3
; VGPRBlocks: 20
; NumSGPRsForWavesPerEU: 26
; NumVGPRsForWavesPerEU: 83
; Occupancy: 3
; WaveLimiterHint : 1
; COMPUTE_PGM_RSRC2:SCRATCH_EN: 0
; COMPUTE_PGM_RSRC2:USER_SGPR: 6
; COMPUTE_PGM_RSRC2:TRAP_HANDLER: 0
; COMPUTE_PGM_RSRC2:TGID_X_EN: 1
; COMPUTE_PGM_RSRC2:TGID_Y_EN: 0
; COMPUTE_PGM_RSRC2:TGID_Z_EN: 0
; COMPUTE_PGM_RSRC2:TIDIG_COMP_CNT: 0
	.type	__hip_cuid_35be1c06bb14beb0,@object ; @__hip_cuid_35be1c06bb14beb0
	.section	.bss,"aw",@nobits
	.globl	__hip_cuid_35be1c06bb14beb0
__hip_cuid_35be1c06bb14beb0:
	.byte	0                               ; 0x0
	.size	__hip_cuid_35be1c06bb14beb0, 1

	.ident	"AMD clang version 19.0.0git (https://github.com/RadeonOpenCompute/llvm-project roc-6.4.0 25133 c7fe45cf4b819c5991fe208aaa96edf142730f1d)"
	.section	".note.GNU-stack","",@progbits
	.addrsig
	.addrsig_sym __hip_cuid_35be1c06bb14beb0
	.amdgpu_metadata
---
amdhsa.kernels:
  - .args:
      - .actual_access:  read_only
        .address_space:  global
        .offset:         0
        .size:           8
        .value_kind:     global_buffer
      - .offset:         8
        .size:           8
        .value_kind:     by_value
      - .actual_access:  read_only
        .address_space:  global
        .offset:         16
        .size:           8
        .value_kind:     global_buffer
      - .actual_access:  read_only
        .address_space:  global
        .offset:         24
        .size:           8
        .value_kind:     global_buffer
      - .offset:         32
        .size:           8
        .value_kind:     by_value
      - .actual_access:  read_only
        .address_space:  global
        .offset:         40
        .size:           8
        .value_kind:     global_buffer
      - .actual_access:  read_only
        .address_space:  global
        .offset:         48
        .size:           8
        .value_kind:     global_buffer
      - .offset:         56
        .size:           4
        .value_kind:     by_value
      - .actual_access:  read_only
        .address_space:  global
        .offset:         64
        .size:           8
        .value_kind:     global_buffer
      - .actual_access:  read_only
        .address_space:  global
        .offset:         72
        .size:           8
        .value_kind:     global_buffer
      - .address_space:  global
        .offset:         80
        .size:           8
        .value_kind:     global_buffer
    .group_segment_fixed_size: 0
    .kernarg_segment_align: 8
    .kernarg_segment_size: 88
    .language:       OpenCL C
    .language_version:
      - 2
      - 0
    .max_flat_workgroup_size: 110
    .name:           fft_rtc_back_len660_factors_11_6_10_wgs_110_tpt_110_halfLds_half_ip_CI_unitstride_sbrr_C2R_dirReg
    .private_segment_fixed_size: 0
    .sgpr_count:     26
    .sgpr_spill_count: 0
    .symbol:         fft_rtc_back_len660_factors_11_6_10_wgs_110_tpt_110_halfLds_half_ip_CI_unitstride_sbrr_C2R_dirReg.kd
    .uniform_work_group_size: 1
    .uses_dynamic_stack: false
    .vgpr_count:     83
    .vgpr_spill_count: 0
    .wavefront_size: 64
amdhsa.target:   amdgcn-amd-amdhsa--gfx906
amdhsa.version:
  - 1
  - 2
...

	.end_amdgpu_metadata
